;; amdgpu-corpus repo=ROCm/rocFFT kind=compiled arch=gfx1030 opt=O3
	.text
	.amdgcn_target "amdgcn-amd-amdhsa--gfx1030"
	.amdhsa_code_object_version 6
	.protected	fft_rtc_back_len121_factors_11_11_wgs_121_tpt_11_half_ip_CI_sbcc_twdbase8_2step_dirReg ; -- Begin function fft_rtc_back_len121_factors_11_11_wgs_121_tpt_11_half_ip_CI_sbcc_twdbase8_2step_dirReg
	.globl	fft_rtc_back_len121_factors_11_11_wgs_121_tpt_11_half_ip_CI_sbcc_twdbase8_2step_dirReg
	.p2align	8
	.type	fft_rtc_back_len121_factors_11_11_wgs_121_tpt_11_half_ip_CI_sbcc_twdbase8_2step_dirReg,@function
fft_rtc_back_len121_factors_11_11_wgs_121_tpt_11_half_ip_CI_sbcc_twdbase8_2step_dirReg: ; @fft_rtc_back_len121_factors_11_11_wgs_121_tpt_11_half_ip_CI_sbcc_twdbase8_2step_dirReg
; %bb.0:
	s_load_dwordx4 s[12:15], s[4:5], 0x18
	s_mov_b64 s[22:23], 0
	s_waitcnt lgkmcnt(0)
	s_load_dwordx2 s[18:19], s[12:13], 0x8
	s_waitcnt lgkmcnt(0)
	s_add_u32 s0, s18, -1
	s_addc_u32 s1, s19, -1
	s_add_u32 s2, 0, 0x5d161400
	s_addc_u32 s3, 0, 0x54
	s_mul_hi_u32 s8, s2, -11
	s_add_i32 s3, s3, 0x1745d120
	s_sub_i32 s8, s8, s2
	s_mul_i32 s10, s3, -11
	s_mul_i32 s7, s2, -11
	s_add_i32 s8, s8, s10
	s_mul_hi_u32 s9, s2, s7
	s_mul_i32 s16, s2, s8
	s_mul_hi_u32 s10, s2, s8
	s_mul_hi_u32 s11, s3, s7
	s_mul_i32 s7, s3, s7
	s_add_u32 s9, s9, s16
	s_addc_u32 s10, 0, s10
	s_mul_hi_u32 s17, s3, s8
	s_add_u32 s7, s9, s7
	s_mul_i32 s8, s3, s8
	s_addc_u32 s7, s10, s11
	s_addc_u32 s9, s17, 0
	s_add_u32 s7, s7, s8
	v_add_co_u32 v1, s2, s2, s7
	s_addc_u32 s7, 0, s9
	s_cmp_lg_u32 s2, 0
	s_addc_u32 s2, s3, s7
	v_readfirstlane_b32 s3, v1
	s_mul_i32 s8, s0, s2
	s_mul_hi_u32 s7, s0, s2
	s_mul_hi_u32 s9, s1, s2
	s_mul_i32 s2, s1, s2
	s_mul_hi_u32 s10, s0, s3
	s_mul_hi_u32 s11, s1, s3
	s_mul_i32 s3, s1, s3
	s_add_u32 s8, s10, s8
	s_addc_u32 s7, 0, s7
	s_add_u32 s3, s8, s3
	s_addc_u32 s3, s7, s11
	s_addc_u32 s7, s9, 0
	s_add_u32 s2, s3, s2
	s_addc_u32 s3, 0, s7
	s_mul_i32 s8, s2, 11
	s_add_u32 s7, s2, 1
	v_sub_co_u32 v1, s0, s0, s8
	s_mul_hi_u32 s8, s2, 11
	s_addc_u32 s9, s3, 0
	s_mul_i32 s10, s3, 11
	v_sub_co_u32 v2, s11, v1, 11
	s_add_u32 s16, s2, 2
	s_addc_u32 s17, s3, 0
	s_add_i32 s8, s8, s10
	s_cmp_lg_u32 s0, 0
	v_readfirstlane_b32 s0, v2
	s_subb_u32 s1, s1, s8
	s_cmp_lg_u32 s11, 0
	s_subb_u32 s8, s1, 0
	s_cmp_gt_u32 s0, 10
	s_cselect_b32 s0, -1, 0
	s_cmp_eq_u32 s8, 0
	v_readfirstlane_b32 s8, v1
	s_cselect_b32 s0, s0, -1
	s_cmp_lg_u32 s0, 0
	s_cselect_b32 s0, s16, s7
	s_cselect_b32 s9, s17, s9
	s_cmp_gt_u32 s8, 10
	s_cselect_b32 s7, -1, 0
	s_cmp_eq_u32 s1, 0
	s_cselect_b32 s1, s7, -1
	s_mov_b32 s7, 0
	s_cmp_lg_u32 s1, 0
	s_cselect_b32 s0, s0, s2
	s_cselect_b32 s1, s9, s3
	s_add_u32 s20, s0, 1
	s_addc_u32 s21, s1, 0
	v_cmp_lt_u64_e64 s0, s[6:7], s[20:21]
	s_and_b32 vcc_lo, exec_lo, s0
	s_cbranch_vccnz .LBB0_2
; %bb.1:
	v_cvt_f32_u32_e32 v1, s20
	s_sub_i32 s1, 0, s20
	s_mov_b32 s23, s7
	v_rcp_iflag_f32_e32 v1, v1
	v_mul_f32_e32 v1, 0x4f7ffffe, v1
	v_cvt_u32_f32_e32 v1, v1
	v_readfirstlane_b32 s0, v1
	s_mul_i32 s1, s1, s0
	s_mul_hi_u32 s1, s0, s1
	s_add_i32 s0, s0, s1
	s_mul_hi_u32 s0, s6, s0
	s_mul_i32 s1, s0, s20
	s_add_i32 s2, s0, 1
	s_sub_i32 s1, s6, s1
	s_sub_i32 s3, s1, s20
	s_cmp_ge_u32 s1, s20
	s_cselect_b32 s0, s2, s0
	s_cselect_b32 s1, s3, s1
	s_add_i32 s2, s0, 1
	s_cmp_ge_u32 s1, s20
	s_cselect_b32 s22, s2, s0
.LBB0_2:
	s_load_dwordx4 s[0:3], s[14:15], 0x0
	s_clause 0x2
	s_load_dwordx4 s[8:11], s[4:5], 0x8
	s_load_dwordx2 s[16:17], s[4:5], 0x0
	s_load_dwordx2 s[4:5], s[4:5], 0x58
	s_mul_i32 s24, s22, s21
	s_mul_hi_u32 s25, s22, s20
	s_mul_i32 s26, s22, s20
	s_add_i32 s25, s25, s24
	s_sub_u32 s36, s6, s26
	s_subb_u32 s24, 0, s25
	s_mul_hi_u32 s33, s36, 11
	s_mul_i32 s24, s24, 11
	s_mul_i32 s36, s36, 11
	s_add_i32 s33, s33, s24
	s_waitcnt lgkmcnt(0)
	s_mul_i32 s24, s2, s33
	v_cmp_lt_u64_e64 s26, s[10:11], 3
	s_mul_hi_u32 s25, s2, s36
	s_mul_i32 s38, s2, s36
	s_add_i32 s24, s25, s24
	s_mul_i32 s25, s3, s36
	s_add_i32 s37, s24, s25
	s_and_b32 vcc_lo, exec_lo, s26
	s_cbranch_vccnz .LBB0_12
; %bb.3:
	s_add_u32 s24, s14, 16
	s_addc_u32 s25, s15, 0
	s_add_u32 s12, s12, 16
	s_addc_u32 s13, s13, 0
	s_mov_b64 s[26:27], 2
	s_mov_b32 s28, 0
.LBB0_4:                                ; =>This Inner Loop Header: Depth=1
	s_load_dwordx2 s[30:31], s[12:13], 0x0
	s_waitcnt lgkmcnt(0)
	s_or_b64 s[34:35], s[22:23], s[30:31]
	s_mov_b32 s29, s35
                                        ; implicit-def: $sgpr34_sgpr35
	s_cmp_lg_u64 s[28:29], 0
	s_mov_b32 s29, -1
	s_cbranch_scc0 .LBB0_6
; %bb.5:                                ;   in Loop: Header=BB0_4 Depth=1
	v_cvt_f32_u32_e32 v1, s30
	v_cvt_f32_u32_e32 v2, s31
	s_sub_u32 s35, 0, s30
	s_subb_u32 s39, 0, s31
	v_fmac_f32_e32 v1, 0x4f800000, v2
	v_rcp_f32_e32 v1, v1
	v_mul_f32_e32 v1, 0x5f7ffffc, v1
	v_mul_f32_e32 v2, 0x2f800000, v1
	v_trunc_f32_e32 v2, v2
	v_fmac_f32_e32 v1, 0xcf800000, v2
	v_cvt_u32_f32_e32 v2, v2
	v_cvt_u32_f32_e32 v1, v1
	v_readfirstlane_b32 s29, v2
	v_readfirstlane_b32 s34, v1
	s_mul_i32 s40, s35, s29
	s_mul_hi_u32 s42, s35, s34
	s_mul_i32 s41, s39, s34
	s_add_i32 s40, s42, s40
	s_mul_i32 s43, s35, s34
	s_add_i32 s40, s40, s41
	s_mul_hi_u32 s42, s34, s43
	s_mul_hi_u32 s44, s29, s43
	s_mul_i32 s41, s29, s43
	s_mul_hi_u32 s43, s34, s40
	s_mul_i32 s34, s34, s40
	s_mul_hi_u32 s45, s29, s40
	s_add_u32 s34, s42, s34
	s_addc_u32 s42, 0, s43
	s_add_u32 s34, s34, s41
	s_mul_i32 s40, s29, s40
	s_addc_u32 s34, s42, s44
	s_addc_u32 s41, s45, 0
	s_add_u32 s34, s34, s40
	s_addc_u32 s40, 0, s41
	v_add_co_u32 v1, s34, v1, s34
	s_cmp_lg_u32 s34, 0
	s_addc_u32 s29, s29, s40
	v_readfirstlane_b32 s34, v1
	s_mul_i32 s40, s35, s29
	s_mul_hi_u32 s41, s35, s34
	s_mul_i32 s39, s39, s34
	s_add_i32 s40, s41, s40
	s_mul_i32 s35, s35, s34
	s_add_i32 s40, s40, s39
	s_mul_hi_u32 s41, s29, s35
	s_mul_i32 s42, s29, s35
	s_mul_hi_u32 s35, s34, s35
	s_mul_hi_u32 s43, s34, s40
	s_mul_i32 s34, s34, s40
	s_mul_hi_u32 s39, s29, s40
	s_add_u32 s34, s35, s34
	s_addc_u32 s35, 0, s43
	s_add_u32 s34, s34, s42
	s_mul_i32 s40, s29, s40
	s_addc_u32 s34, s35, s41
	s_addc_u32 s35, s39, 0
	s_add_u32 s34, s34, s40
	s_addc_u32 s35, 0, s35
	v_add_co_u32 v1, s34, v1, s34
	s_cmp_lg_u32 s34, 0
	s_addc_u32 s29, s29, s35
	v_readfirstlane_b32 s34, v1
	s_mul_i32 s39, s22, s29
	s_mul_hi_u32 s35, s22, s29
	s_mul_hi_u32 s40, s23, s29
	s_mul_i32 s29, s23, s29
	s_mul_hi_u32 s41, s22, s34
	s_mul_hi_u32 s42, s23, s34
	s_mul_i32 s34, s23, s34
	s_add_u32 s39, s41, s39
	s_addc_u32 s35, 0, s35
	s_add_u32 s34, s39, s34
	s_addc_u32 s34, s35, s42
	s_addc_u32 s35, s40, 0
	s_add_u32 s34, s34, s29
	s_addc_u32 s35, 0, s35
	s_mul_hi_u32 s29, s30, s34
	s_mul_i32 s40, s30, s35
	s_mul_i32 s41, s30, s34
	s_add_i32 s29, s29, s40
	v_sub_co_u32 v1, s40, s22, s41
	s_mul_i32 s39, s31, s34
	s_add_i32 s29, s29, s39
	v_sub_co_u32 v2, s41, v1, s30
	s_sub_i32 s39, s23, s29
	s_cmp_lg_u32 s40, 0
	s_subb_u32 s39, s39, s31
	s_cmp_lg_u32 s41, 0
	v_readfirstlane_b32 s41, v2
	s_subb_u32 s39, s39, 0
	s_cmp_ge_u32 s39, s31
	s_cselect_b32 s42, -1, 0
	s_cmp_ge_u32 s41, s30
	s_cselect_b32 s41, -1, 0
	s_cmp_eq_u32 s39, s31
	s_cselect_b32 s39, s41, s42
	s_add_u32 s41, s34, 1
	s_addc_u32 s42, s35, 0
	s_add_u32 s43, s34, 2
	s_addc_u32 s44, s35, 0
	s_cmp_lg_u32 s39, 0
	s_cselect_b32 s39, s43, s41
	s_cselect_b32 s41, s44, s42
	s_cmp_lg_u32 s40, 0
	v_readfirstlane_b32 s40, v1
	s_subb_u32 s29, s23, s29
	s_cmp_ge_u32 s29, s31
	s_cselect_b32 s42, -1, 0
	s_cmp_ge_u32 s40, s30
	s_cselect_b32 s40, -1, 0
	s_cmp_eq_u32 s29, s31
	s_cselect_b32 s29, s40, s42
	s_cmp_lg_u32 s29, 0
	s_mov_b32 s29, 0
	s_cselect_b32 s35, s41, s35
	s_cselect_b32 s34, s39, s34
.LBB0_6:                                ;   in Loop: Header=BB0_4 Depth=1
	s_andn2_b32 vcc_lo, exec_lo, s29
	s_cbranch_vccnz .LBB0_8
; %bb.7:                                ;   in Loop: Header=BB0_4 Depth=1
	v_cvt_f32_u32_e32 v1, s30
	s_sub_i32 s34, 0, s30
	v_rcp_iflag_f32_e32 v1, v1
	v_mul_f32_e32 v1, 0x4f7ffffe, v1
	v_cvt_u32_f32_e32 v1, v1
	v_readfirstlane_b32 s29, v1
	s_mul_i32 s34, s34, s29
	s_mul_hi_u32 s34, s29, s34
	s_add_i32 s29, s29, s34
	s_mul_hi_u32 s29, s22, s29
	s_mul_i32 s34, s29, s30
	s_add_i32 s35, s29, 1
	s_sub_i32 s34, s22, s34
	s_sub_i32 s39, s34, s30
	s_cmp_ge_u32 s34, s30
	s_cselect_b32 s29, s35, s29
	s_cselect_b32 s34, s39, s34
	s_add_i32 s35, s29, 1
	s_cmp_ge_u32 s34, s30
	s_cselect_b32 s34, s35, s29
	s_mov_b32 s35, s28
.LBB0_8:                                ;   in Loop: Header=BB0_4 Depth=1
	s_load_dwordx2 s[40:41], s[24:25], 0x0
	s_mul_i32 s21, s30, s21
	s_mul_hi_u32 s29, s30, s20
	s_mul_i32 s39, s31, s20
	s_mul_i32 s31, s34, s31
	s_mul_hi_u32 s42, s34, s30
	s_mul_i32 s43, s35, s30
	s_add_i32 s21, s29, s21
	s_add_i32 s29, s42, s31
	s_mul_i32 s44, s34, s30
	s_add_i32 s21, s21, s39
	s_add_i32 s29, s29, s43
	s_sub_u32 s22, s22, s44
	s_subb_u32 s23, s23, s29
	s_mul_i32 s20, s30, s20
	s_waitcnt lgkmcnt(0)
	s_mul_i32 s23, s40, s23
	s_mul_hi_u32 s29, s40, s22
	s_add_i32 s23, s29, s23
	s_mul_i32 s29, s41, s22
	s_mul_i32 s22, s40, s22
	s_add_i32 s23, s23, s29
	s_add_u32 s38, s22, s38
	s_addc_u32 s37, s23, s37
	s_add_u32 s26, s26, 1
	s_addc_u32 s27, s27, 0
	s_add_u32 s24, s24, 8
	v_cmp_ge_u64_e64 s22, s[26:27], s[10:11]
	s_addc_u32 s25, s25, 0
	s_add_u32 s12, s12, 8
	s_addc_u32 s13, s13, 0
	s_and_b32 vcc_lo, exec_lo, s22
	s_cbranch_vccnz .LBB0_10
; %bb.9:                                ;   in Loop: Header=BB0_4 Depth=1
	s_mov_b64 s[22:23], s[34:35]
	s_branch .LBB0_4
.LBB0_10:
	v_cmp_lt_u64_e64 s7, s[6:7], s[20:21]
	s_mov_b64 s[22:23], 0
	s_and_b32 vcc_lo, exec_lo, s7
	s_cbranch_vccnz .LBB0_12
; %bb.11:
	v_cvt_f32_u32_e32 v1, s20
	s_sub_i32 s12, 0, s20
	v_rcp_iflag_f32_e32 v1, v1
	v_mul_f32_e32 v1, 0x4f7ffffe, v1
	v_cvt_u32_f32_e32 v1, v1
	v_readfirstlane_b32 s7, v1
	s_mul_i32 s12, s12, s7
	s_mul_hi_u32 s12, s7, s12
	s_add_i32 s7, s7, s12
	s_mul_hi_u32 s7, s6, s7
	s_mul_i32 s12, s7, s20
	s_sub_i32 s6, s6, s12
	s_add_i32 s12, s7, 1
	s_sub_i32 s13, s6, s20
	s_cmp_ge_u32 s6, s20
	s_cselect_b32 s7, s12, s7
	s_cselect_b32 s6, s13, s6
	s_add_i32 s12, s7, 1
	s_cmp_ge_u32 s6, s20
	s_cselect_b32 s22, s12, s7
.LBB0_12:
	s_lshl_b64 s[6:7], s[10:11], 3
	v_mul_u32_u24_e32 v1, 0x1746, v0
	s_add_u32 s6, s14, s6
	s_addc_u32 s7, s15, s7
                                        ; implicit-def: $vgpr17
                                        ; implicit-def: $vgpr15
                                        ; implicit-def: $vgpr25
                                        ; implicit-def: $vgpr24
                                        ; implicit-def: $vgpr19
                                        ; implicit-def: $vgpr16
                                        ; implicit-def: $vgpr13
                                        ; implicit-def: $vgpr7
                                        ; implicit-def: $vgpr5
                                        ; implicit-def: $vgpr3
                                        ; implicit-def: $vgpr23
                                        ; implicit-def: $vgpr21
                                        ; implicit-def: $vgpr20
                                        ; implicit-def: $vgpr18
                                        ; implicit-def: $vgpr14
                                        ; implicit-def: $vgpr12
                                        ; implicit-def: $vgpr8
                                        ; implicit-def: $vgpr6
                                        ; implicit-def: $vgpr4
                                        ; implicit-def: $vgpr2
	s_load_dwordx2 s[6:7], s[6:7], 0x0
	v_lshrrev_b32_e32 v11, 16, v1
	v_mul_lo_u16 v1, v11, 11
	v_sub_nc_u16 v1, v0, v1
	v_and_b32_e32 v22, 0xffff, v1
                                        ; implicit-def: $vgpr1
	s_waitcnt lgkmcnt(0)
	s_mul_i32 s7, s7, s22
	s_mul_hi_u32 s10, s6, s22
	s_mul_i32 s6, s6, s22
	v_add_co_u32 v9, s11, s36, v22
	s_add_i32 s10, s10, s7
	v_add_co_ci_u32_e64 v10, null, s33, 0, s11
	s_add_u32 s6, s6, s38
	s_addc_u32 s7, s10, s37
	s_add_u32 s10, s36, 11
	s_addc_u32 s11, s33, 0
	v_cmp_gt_u64_e32 vcc_lo, s[18:19], v[9:10]
	v_cmp_le_u64_e64 s10, s[10:11], s[18:19]
                                        ; implicit-def: $vgpr10
	s_or_b32 s10, s10, vcc_lo
	s_and_saveexec_b32 s11, s10
	s_cbranch_execz .LBB0_14
; %bb.13:
	v_mad_u64_u32 v[1:2], null, s2, v22, 0
	v_mad_u64_u32 v[3:4], null, s0, v11, 0
	v_add_nc_u32_e32 v10, 11, v11
	s_lshl_b64 s[12:13], s[6:7], 2
	v_add_nc_u32_e32 v18, 44, v11
	s_add_u32 s12, s4, s12
	s_addc_u32 s13, s5, s13
	v_mad_u64_u32 v[5:6], null, s0, v10, 0
	v_mad_u64_u32 v[7:8], null, s3, v22, v[2:3]
	v_add_nc_u32_e32 v8, 22, v11
	v_add_nc_u32_e32 v19, 55, v11
	;; [unrolled: 1-line block ×4, first 2 shown]
	v_mad_u64_u32 v[12:13], null, s1, v11, v[4:5]
	v_mov_b32_e32 v4, v6
	v_mad_u64_u32 v[13:14], null, s0, v8, 0
	v_mov_b32_e32 v2, v7
	v_add_nc_u32_e32 v26, 0x58, v11
	v_mad_u64_u32 v[6:7], null, s1, v10, v[4:5]
	v_mov_b32_e32 v4, v12
	v_lshlrev_b64 v[1:2], 2, v[1:2]
	v_add_nc_u32_e32 v10, 33, v11
	v_mov_b32_e32 v7, v14
	v_add_nc_u32_e32 v31, 0x63, v11
	v_lshlrev_b64 v[3:4], 2, v[3:4]
	v_lshlrev_b64 v[5:6], 2, v[5:6]
	v_add_co_u32 v33, vcc_lo, s12, v1
	v_add_co_ci_u32_e32 v34, vcc_lo, s13, v2, vcc_lo
	v_mad_u64_u32 v[1:2], null, s0, v10, 0
	v_mad_u64_u32 v[7:8], null, s1, v8, v[7:8]
	v_add_co_u32 v3, vcc_lo, v33, v3
	v_add_co_ci_u32_e32 v4, vcc_lo, v34, v4, vcc_lo
	v_add_co_u32 v5, vcc_lo, v33, v5
	v_mov_b32_e32 v14, v7
	v_mad_u64_u32 v[7:8], null, s0, v18, 0
	v_mad_u64_u32 v[15:16], null, s1, v10, v[2:3]
	;; [unrolled: 1-line block ×3, first 2 shown]
	v_lshlrev_b64 v[12:13], 2, v[13:14]
	v_add_co_ci_u32_e32 v6, vcc_lo, v34, v6, vcc_lo
	v_add_nc_u32_e32 v35, 0x6e, v11
	v_mov_b32_e32 v2, v15
	v_mad_u64_u32 v[14:15], null, s1, v18, v[8:9]
	v_mov_b32_e32 v10, v17
	v_add_co_u32 v12, vcc_lo, v33, v12
	v_lshlrev_b64 v[1:2], 2, v[1:2]
	v_add_co_ci_u32_e32 v13, vcc_lo, v34, v13, vcc_lo
	v_mov_b32_e32 v8, v14
	v_mad_u64_u32 v[14:15], null, s1, v19, v[10:11]
	v_mad_u64_u32 v[18:19], null, s0, v20, 0
	v_lshlrev_b64 v[7:8], 2, v[7:8]
	v_add_co_u32 v1, vcc_lo, v33, v1
	v_add_co_ci_u32_e32 v2, vcc_lo, v34, v2, vcc_lo
	v_mov_b32_e32 v17, v14
	v_mov_b32_e32 v10, v19
	v_mad_u64_u32 v[14:15], null, s0, v23, 0
	v_add_co_u32 v7, vcc_lo, v33, v7
	v_mad_u64_u32 v[19:20], null, s1, v20, v[10:11]
	v_mad_u64_u32 v[20:21], null, s0, v26, 0
	v_mov_b32_e32 v10, v15
	v_lshlrev_b64 v[15:16], 2, v[16:17]
	v_add_co_ci_u32_e32 v8, vcc_lo, v34, v8, vcc_lo
	v_mad_u64_u32 v[23:24], null, s1, v23, v[10:11]
	v_mov_b32_e32 v10, v21
	v_mad_u64_u32 v[24:25], null, s0, v31, 0
	v_add_co_u32 v29, vcc_lo, v33, v15
	v_mad_u64_u32 v[26:27], null, s1, v26, v[10:11]
	v_mad_u64_u32 v[27:28], null, s0, v35, 0
	v_mov_b32_e32 v10, v25
	v_add_co_ci_u32_e32 v30, vcc_lo, v34, v16, vcc_lo
	v_lshlrev_b64 v[16:17], 2, v[18:19]
	v_mov_b32_e32 v15, v23
	v_mad_u64_u32 v[18:19], null, s1, v31, v[10:11]
	v_mov_b32_e32 v10, v28
	v_mov_b32_e32 v21, v26
	v_add_co_u32 v31, vcc_lo, v33, v16
	v_add_co_ci_u32_e32 v32, vcc_lo, v34, v17, vcc_lo
	v_mad_u64_u32 v[16:17], null, s1, v35, v[10:11]
	v_lshlrev_b64 v[14:15], 2, v[14:15]
	v_mov_b32_e32 v25, v18
	v_lshlrev_b64 v[19:20], 2, v[20:21]
	v_add_co_u32 v17, vcc_lo, v33, v14
	v_mov_b32_e32 v28, v16
	v_add_co_ci_u32_e32 v18, vcc_lo, v34, v15, vcc_lo
	v_lshlrev_b64 v[14:15], 2, v[24:25]
	v_add_co_u32 v19, vcc_lo, v33, v19
	v_lshlrev_b64 v[23:24], 2, v[27:28]
	v_add_co_ci_u32_e32 v20, vcc_lo, v34, v20, vcc_lo
	v_add_co_u32 v25, vcc_lo, v33, v14
	v_add_co_ci_u32_e32 v26, vcc_lo, v34, v15, vcc_lo
	v_add_co_u32 v27, vcc_lo, v33, v23
	v_add_co_ci_u32_e32 v28, vcc_lo, v34, v24, vcc_lo
	s_clause 0xa
	global_load_dword v15, v[3:4], off
	global_load_dword v24, v[5:6], off
	;; [unrolled: 1-line block ×11, first 2 shown]
	s_waitcnt vmcnt(10)
	v_lshrrev_b32_e32 v17, 16, v15
	s_waitcnt vmcnt(9)
	v_lshrrev_b32_e32 v25, 16, v24
	;; [unrolled: 2-line block ×11, first 2 shown]
.LBB0_14:
	s_or_b32 exec_lo, exec_lo, s11
	v_add_f16_e32 v26, v15, v24
	v_add_f16_e32 v27, v17, v25
	;; [unrolled: 1-line block ×3, first 2 shown]
	v_sub_f16_e32 v29, v25, v23
	v_sub_f16_e32 v24, v24, v21
	v_add_f16_e32 v26, v26, v16
	v_add_f16_e32 v27, v27, v19
	;; [unrolled: 1-line block ×3, first 2 shown]
	v_mul_f16_e32 v30, 0xb853, v29
	v_mul_f16_e32 v32, 0xbb47, v29
	v_add_f16_e32 v26, v26, v10
	v_add_f16_e32 v27, v27, v13
	v_mul_f16_e32 v33, 0xbb47, v24
	v_mul_f16_e32 v34, 0xbbeb, v29
	;; [unrolled: 1-line block ×3, first 2 shown]
	v_add_f16_e32 v26, v26, v5
	v_add_f16_e32 v27, v27, v7
	v_sub_f16_e32 v44, v19, v20
	v_mul_f16_e32 v31, 0xb853, v24
	v_mul_f16_e32 v36, 0xba0c, v29
	v_add_f16_e32 v26, v26, v1
	v_add_f16_e32 v27, v27, v3
	v_fmamk_f16 v37, v28, 0x3abb, v30
	v_fmamk_f16 v39, v28, 0x36a6, v32
	v_fma_f16 v40, v25, 0x36a6, -v33
	v_add_f16_e32 v26, v26, v2
	v_add_f16_e32 v27, v27, v4
	v_fma_f16 v32, v28, 0x36a6, -v32
	v_fmac_f16_e32 v33, 0x36a6, v25
	v_fmamk_f16 v41, v28, 0xb08e, v34
	v_add_f16_e32 v26, v6, v26
	v_add_f16_e32 v27, v8, v27
	v_fma_f16 v42, v25, 0xb08e, -v35
	v_mul_f16_e32 v29, 0xb482, v29
	v_add_f16_e32 v46, v16, v18
	v_add_f16_e32 v26, v12, v26
	;; [unrolled: 1-line block ×3, first 2 shown]
	v_mul_f16_e32 v47, 0xbb47, v44
	v_sub_f16_e32 v16, v16, v18
	v_fma_f16 v38, v25, 0x3abb, -v31
	v_add_f16_e32 v26, v18, v26
	v_add_f16_e32 v27, v20, v27
	v_fma_f16 v30, v28, 0x3abb, -v30
	v_fmac_f16_e32 v31, 0x3abb, v25
	v_add_f16_e32 v37, v15, v37
	v_add_f16_e32 v21, v21, v26
	v_add_f16_sdwa v23, v23, v27 dst_sel:WORD_1 dst_unused:UNUSED_PAD src0_sel:DWORD src1_sel:DWORD
	v_add_f16_e32 v26, v17, v40
	v_add_f16_e32 v27, v15, v32
	;; [unrolled: 1-line block ×4, first 2 shown]
	v_or_b32_sdwa v21, v23, v21 dst_sel:DWORD dst_unused:UNUSED_PAD src0_sel:DWORD src1_sel:WORD_0
	v_fma_f16 v23, v28, 0xb08e, -v34
	v_mul_f16_e32 v34, 0xba0c, v24
	v_mul_f16_e32 v24, 0xb482, v24
	v_fmac_f16_e32 v35, 0xb08e, v25
	v_add_f16_e32 v40, v17, v42
	v_fmamk_f16 v41, v28, 0xb93d, v36
	v_fma_f16 v42, v25, 0xb93d, -v34
	v_fma_f16 v36, v28, 0xb93d, -v36
	v_fmac_f16_e32 v34, 0xb93d, v25
	v_fmamk_f16 v43, v28, 0xbbad, v29
	v_fma_f16 v45, v25, 0xbbad, -v24
	v_fma_f16 v18, v28, 0xbbad, -v29
	v_fmac_f16_e32 v24, 0xbbad, v25
	v_add_f16_e32 v19, v19, v20
	v_fmamk_f16 v20, v46, 0x36a6, v47
	v_mul_f16_e32 v25, 0xbb47, v16
	v_add_f16_e32 v38, v17, v38
	v_add_f16_e32 v30, v15, v30
	;; [unrolled: 1-line block ×15, first 2 shown]
	v_fma_f16 v20, v19, 0x36a6, -v25
	v_mul_f16_e32 v24, 0xba0c, v44
	v_fma_f16 v29, v46, 0x36a6, -v47
	v_fmac_f16_e32 v25, 0x36a6, v19
	v_mul_f16_e32 v37, 0xba0c, v16
	v_add_f16_e32 v20, v38, v20
	v_fmamk_f16 v38, v46, 0xb93d, v24
	v_add_f16_e32 v29, v30, v29
	v_add_f16_e32 v25, v31, v25
	v_fma_f16 v30, v19, 0xb93d, -v37
	v_mul_f16_e32 v31, 0x3482, v44
	v_fma_f16 v24, v46, 0xb93d, -v24
	v_fmac_f16_e32 v37, 0xb93d, v19
	v_add_f16_e32 v38, v39, v38
	v_add_f16_e32 v26, v26, v30
	v_fmamk_f16 v30, v46, 0xbbad, v31
	v_mul_f16_e32 v39, 0x3482, v16
	v_add_f16_e32 v24, v27, v24
	v_add_f16_e32 v27, v32, v37
	v_mul_f16_e32 v32, 0x3beb, v44
	v_add_f16_e32 v30, v33, v30
	v_fma_f16 v33, v19, 0xbbad, -v39
	v_fma_f16 v31, v46, 0xbbad, -v31
	v_fmac_f16_e32 v39, 0xbbad, v19
	v_fmamk_f16 v37, v46, 0xb08e, v32
	v_mul_f16_e32 v45, 0x3beb, v16
	v_mul_f16_e32 v16, 0x3853, v16
	v_add_f16_e32 v23, v23, v31
	v_add_f16_e32 v31, v35, v39
	;; [unrolled: 1-line block ×3, first 2 shown]
	v_fma_f16 v32, v46, 0xb08e, -v32
	v_fma_f16 v41, v19, 0x3abb, -v16
	v_mul_f16_e32 v39, 0x3853, v44
	v_add_f16_e32 v33, v40, v33
	v_fmac_f16_e32 v16, 0x3abb, v19
	v_add_f16_e32 v32, v36, v32
	v_sub_f16_e32 v36, v13, v14
	v_add_f16_e32 v28, v28, v41
	v_add_f16_e32 v41, v10, v12
	v_sub_f16_e32 v10, v10, v12
	v_fmamk_f16 v40, v46, 0x3abb, v39
	v_mul_f16_e32 v12, 0xbbeb, v36
	v_fma_f16 v39, v46, 0x3abb, -v39
	v_add_f16_e32 v13, v13, v14
	v_mul_f16_e32 v14, 0xbbeb, v10
	v_fma_f16 v37, v19, 0xb08e, -v45
	v_fmac_f16_e32 v45, 0xb08e, v19
	v_fmamk_f16 v19, v41, 0xb08e, v12
	v_add_f16_e32 v15, v15, v39
	v_add_f16_e32 v16, v17, v16
	v_mul_f16_e32 v17, 0x3482, v36
	v_fma_f16 v39, v13, 0xb08e, -v14
	v_add_f16_e32 v18, v18, v19
	v_fma_f16 v12, v41, 0xb08e, -v12
	v_fmac_f16_e32 v14, 0xb08e, v13
	v_fmamk_f16 v19, v41, 0xbbad, v17
	v_add_f16_e32 v20, v20, v39
	v_mul_f16_e32 v39, 0x3482, v10
	v_add_f16_e32 v12, v29, v12
	v_add_f16_e32 v14, v25, v14
	;; [unrolled: 1-line block ×3, first 2 shown]
	v_mul_f16_e32 v25, 0x3b47, v36
	v_fma_f16 v29, v13, 0xbbad, -v39
	v_fma_f16 v17, v41, 0xbbad, -v17
	v_fmac_f16_e32 v39, 0xbbad, v13
	v_mul_f16_e32 v38, 0x3b47, v10
	v_add_f16_e32 v37, v42, v37
	v_fmamk_f16 v42, v41, 0x36a6, v25
	v_add_f16_e32 v17, v24, v17
	v_add_f16_e32 v24, v27, v39
	v_fma_f16 v27, v13, 0x36a6, -v38
	v_fma_f16 v25, v41, 0x36a6, -v25
	v_fmac_f16_e32 v38, 0x36a6, v13
	v_add_f16_e32 v26, v26, v29
	v_add_f16_e32 v29, v30, v42
	v_mul_f16_e32 v30, 0xb853, v36
	v_add_f16_e32 v27, v33, v27
	v_mul_f16_e32 v33, 0xb853, v10
	v_add_f16_e32 v23, v23, v25
	v_add_f16_e32 v25, v31, v38
	v_mul_f16_e32 v31, 0xba0c, v36
	v_add_f16_e32 v34, v34, v45
	v_add_f16_e32 v40, v43, v40
	v_fmamk_f16 v39, v41, 0x3abb, v30
	v_fma_f16 v36, v13, 0x3abb, -v33
	v_fma_f16 v30, v41, 0x3abb, -v30
	v_fmac_f16_e32 v33, 0x3abb, v13
	v_fmamk_f16 v38, v41, 0xb93d, v31
	v_mul_f16_e32 v10, 0xba0c, v10
	v_add_f16_e32 v36, v37, v36
	v_add_f16_e32 v30, v32, v30
	;; [unrolled: 1-line block ×4, first 2 shown]
	v_sub_f16_e32 v34, v7, v8
	v_sub_f16_e32 v38, v5, v6
	v_fma_f16 v37, v13, 0xb93d, -v10
	v_fma_f16 v31, v41, 0xb93d, -v31
	v_add_f16_e32 v5, v5, v6
	v_mul_f16_e32 v6, 0xba0c, v34
	v_fmac_f16_e32 v10, 0xb93d, v13
	v_add_f16_e32 v7, v7, v8
	v_mul_f16_e32 v8, 0xba0c, v38
	v_add_f16_e32 v13, v28, v37
	v_fmamk_f16 v28, v5, 0xb93d, v6
	v_add_f16_e32 v15, v15, v31
	v_add_f16_e32 v10, v16, v10
	v_fma_f16 v16, v7, 0xb93d, -v8
	v_mul_f16_e32 v31, 0x3beb, v34
	v_add_f16_e32 v18, v18, v28
	v_fma_f16 v6, v5, 0xb93d, -v6
	v_fmac_f16_e32 v8, 0xb93d, v7
	v_add_f16_e32 v16, v20, v16
	v_fmamk_f16 v20, v5, 0xb08e, v31
	v_mul_f16_e32 v28, 0x3beb, v38
	v_add_f16_e32 v6, v12, v6
	v_add_f16_e32 v8, v14, v8
	v_mul_f16_e32 v12, 0xb853, v34
	v_add_f16_e32 v14, v19, v20
	v_fma_f16 v19, v7, 0xb08e, -v28
	v_fma_f16 v20, v5, 0xb08e, -v31
	v_fmac_f16_e32 v28, 0xb08e, v7
	v_mul_f16_e32 v37, 0xb853, v38
	v_fmamk_f16 v31, v5, 0x3abb, v12
	v_add_f16_e32 v19, v26, v19
	v_add_f16_e32 v17, v17, v20
	;; [unrolled: 1-line block ×3, first 2 shown]
	v_fma_f16 v26, v7, 0x3abb, -v37
	v_mul_f16_e32 v28, 0xb482, v34
	v_add_f16_e32 v24, v29, v31
	v_fma_f16 v12, v5, 0x3abb, -v12
	v_fmac_f16_e32 v37, 0x3abb, v7
	v_mul_f16_e32 v29, 0xb482, v38
	v_add_f16_e32 v26, v27, v26
	v_fmamk_f16 v27, v5, 0xbbad, v28
	v_mul_f16_e32 v31, 0x3b47, v34
	v_fma_f16 v28, v5, 0xbbad, -v28
	v_add_f16_e32 v35, v35, v39
	v_add_f16_e32 v12, v23, v12
	;; [unrolled: 1-line block ×3, first 2 shown]
	v_fma_f16 v25, v7, 0xbbad, -v29
	v_fmac_f16_e32 v29, 0xbbad, v7
	v_fmamk_f16 v34, v5, 0x36a6, v31
	v_add_f16_e32 v28, v30, v28
	v_sub_f16_e32 v30, v3, v4
	v_add_f16_e32 v27, v35, v27
	v_mul_f16_e32 v35, 0x3b47, v38
	v_add_f16_e32 v29, v32, v29
	v_add_f16_e32 v32, v33, v34
	;; [unrolled: 1-line block ×3, first 2 shown]
	v_sub_f16_e32 v1, v1, v2
	v_mul_f16_e32 v2, 0xb482, v30
	v_fma_f16 v33, v7, 0x36a6, -v35
	v_fma_f16 v5, v5, 0x36a6, -v31
	v_fmac_f16_e32 v35, 0x36a6, v7
	v_add_f16_e32 v3, v3, v4
	v_mul_f16_e32 v4, 0xb482, v1
	v_fmamk_f16 v7, v34, 0xbbad, v2
	v_add_f16_e32 v5, v15, v5
	v_add_f16_e32 v15, v10, v35
	v_fma_f16 v2, v34, 0xbbad, -v2
	v_fma_f16 v10, v3, 0xbbad, -v4
	v_add_f16_e32 v7, v18, v7
	v_mul_f16_e32 v18, 0x3853, v30
	v_fmac_f16_e32 v4, 0xbbad, v3
	v_add_f16_e32 v2, v6, v2
	v_add_f16_e32 v16, v16, v10
	v_mul_f16_e32 v10, 0x3853, v1
	v_fmamk_f16 v31, v34, 0x3abb, v18
	v_mul_f16_e32 v6, 0xba0c, v30
	v_add_f16_e32 v4, v8, v4
	v_fma_f16 v18, v34, 0x3abb, -v18
	v_fma_f16 v8, v3, 0x3abb, -v10
	v_add_f16_e32 v14, v14, v31
	v_fmac_f16_e32 v10, 0x3abb, v3
	v_fmamk_f16 v31, v34, 0xb93d, v6
	v_add_f16_e32 v17, v17, v18
	v_fma_f16 v6, v34, 0xb93d, -v6
	v_add_f16_e32 v8, v19, v8
	v_add_f16_e32 v18, v20, v10
	;; [unrolled: 1-line block ×3, first 2 shown]
	v_mul_f16_e32 v31, 0x3b47, v1
	v_mul_f16_e32 v19, 0xba0c, v1
	;; [unrolled: 1-line block ×3, first 2 shown]
	v_add_f16_e32 v25, v36, v25
	v_add_f16_e32 v6, v12, v6
	v_fma_f16 v12, v3, 0x36a6, -v31
	v_add_f16_e32 v13, v13, v33
	v_fma_f16 v24, v3, 0xb93d, -v19
	v_fmamk_f16 v33, v34, 0x36a6, v10
	v_fma_f16 v10, v34, 0x36a6, -v10
	v_fmac_f16_e32 v19, 0xb93d, v3
	v_fmac_f16_e32 v31, 0x36a6, v3
	v_add_f16_e32 v12, v25, v12
	v_mul_f16_e32 v25, 0xbbeb, v30
	v_mul_f16_e32 v1, 0xbbeb, v1
	v_add_f16_e32 v24, v26, v24
	v_add_f16_e32 v26, v28, v10
	v_mad_u32_u24 v10, 0x1e4, v11, 0
	v_add_f16_e32 v19, v23, v19
	v_add_f16_e32 v23, v27, v33
	;; [unrolled: 1-line block ×3, first 2 shown]
	v_fmamk_f16 v28, v34, 0xb08e, v25
	v_fma_f16 v29, v3, 0xb08e, -v1
	v_fma_f16 v25, v34, 0xb08e, -v25
	v_fmac_f16_e32 v1, 0xb08e, v3
	v_lshl_add_u32 v3, v22, 2, v10
	v_pack_b32_f16 v7, v7, v16
	v_add_f16_e32 v16, v32, v28
	v_add_f16_e32 v13, v13, v29
	;; [unrolled: 1-line block ×4, first 2 shown]
	ds_write2_b32 v3, v21, v7 offset1:11
	v_pack_b32_f16 v7, v14, v8
	v_pack_b32_f16 v8, v20, v24
	;; [unrolled: 1-line block ×9, first 2 shown]
	ds_write2_b32 v3, v7, v8 offset0:22 offset1:33
	ds_write2_b32 v3, v12, v13 offset0:44 offset1:55
	;; [unrolled: 1-line block ×4, first 2 shown]
	ds_write_b32 v3, v2 offset:440
	s_waitcnt lgkmcnt(0)
	s_barrier
	buffer_gl0_inv
	s_and_saveexec_b32 s11, s10
	s_cbranch_execz .LBB0_16
; %bb.15:
	v_mul_lo_u16 v1, v11, 24
	v_mov_b32_e32 v24, 2
	v_lshrrev_b16 v1, 8, v1
	v_mul_lo_u16 v1, v1, 11
	v_sub_nc_u16 v1, v11, v1
	v_mul_i32_i24_e32 v11, 0xfffffe48, v11
	v_and_b32_e32 v23, 0xff, v1
	v_mul_u32_u24_e32 v1, 10, v23
	v_add_nc_u32_e32 v14, 0x6e, v23
	v_add_nc_u32_e32 v15, 0x63, v23
	;; [unrolled: 1-line block ×4, first 2 shown]
	v_lshlrev_b32_e32 v12, 2, v1
	v_add_nc_u32_e32 v18, 0x42, v23
	v_add_nc_u32_e32 v19, 55, v23
	;; [unrolled: 1-line block ×4, first 2 shown]
	v_mul_lo_u32 v14, v9, v14
	v_mul_lo_u32 v15, v9, v15
	s_clause 0x2
	global_load_dwordx4 v[1:4], v12, s[16:17] offset:16
	global_load_dwordx4 v[5:8], v12, s[16:17]
	global_load_dwordx2 v[12:13], v12, s[16:17] offset:32
	v_mul_lo_u32 v16, v9, v16
	v_mul_lo_u32 v17, v9, v17
	;; [unrolled: 1-line block ×6, first 2 shown]
	v_lshlrev_b32_sdwa v25, v24, v14 dst_sel:DWORD dst_unused:UNUSED_PAD src0_sel:DWORD src1_sel:BYTE_0
	v_lshlrev_b32_sdwa v14, v24, v14 dst_sel:DWORD dst_unused:UNUSED_PAD src0_sel:DWORD src1_sel:BYTE_1
	v_lshlrev_b32_sdwa v26, v24, v15 dst_sel:DWORD dst_unused:UNUSED_PAD src0_sel:DWORD src1_sel:BYTE_0
	v_lshlrev_b32_sdwa v15, v24, v15 dst_sel:DWORD dst_unused:UNUSED_PAD src0_sel:DWORD src1_sel:BYTE_1
	v_lshlrev_b32_sdwa v27, v24, v16 dst_sel:DWORD dst_unused:UNUSED_PAD src0_sel:DWORD src1_sel:BYTE_0
	v_lshlrev_b32_sdwa v28, v24, v17 dst_sel:DWORD dst_unused:UNUSED_PAD src0_sel:DWORD src1_sel:BYTE_0
	;; [unrolled: 1-line block ×6, first 2 shown]
	v_lshlrev_b32_sdwa v16, v24, v16 dst_sel:DWORD dst_unused:UNUSED_PAD src0_sel:DWORD src1_sel:BYTE_1
	v_lshlrev_b32_sdwa v17, v24, v17 dst_sel:DWORD dst_unused:UNUSED_PAD src0_sel:DWORD src1_sel:BYTE_1
	;; [unrolled: 1-line block ×6, first 2 shown]
	s_clause 0xf
	global_load_dword v37, v25, s[8:9]
	global_load_dword v40, v14, s[8:9] offset:1024
	global_load_dword v33, v26, s[8:9]
	global_load_dword v38, v15, s[8:9] offset:1024
	;; [unrolled: 2-line block ×8, first 2 shown]
	v_lshlrev_b32_e32 v14, 2, v22
	v_add_nc_u32_e32 v43, 22, v23
	v_add_nc_u32_e32 v44, 11, v23
	v_add3_u32 v14, v10, v11, v14
	v_mul_lo_u32 v43, v9, v43
	ds_read2_b32 v[10:11], v14 offset1:121
	ds_read_b32 v41, v14 offset:4840
	v_add_nc_u32_e32 v15, 0x600, v14
	v_add_nc_u32_e32 v16, 0xa00, v14
	;; [unrolled: 1-line block ×4, first 2 shown]
	ds_read2_b32 v[18:19], v15 offset0:100 offset1:221
	ds_read2_b32 v[20:21], v16 offset0:86 offset1:207
	;; [unrolled: 1-line block ×4, first 2 shown]
	v_mul_lo_u32 v42, v9, v23
	v_mul_lo_u32 v9, v9, v44
	v_lshlrev_b32_sdwa v54, v24, v43 dst_sel:DWORD dst_unused:UNUSED_PAD src0_sel:DWORD src1_sel:BYTE_0
	v_lshlrev_b32_sdwa v43, v24, v43 dst_sel:DWORD dst_unused:UNUSED_PAD src0_sel:DWORD src1_sel:BYTE_1
	v_lshlrev_b32_sdwa v44, v24, v42 dst_sel:DWORD dst_unused:UNUSED_PAD src0_sel:DWORD src1_sel:BYTE_0
	v_lshlrev_b32_sdwa v55, v24, v9 dst_sel:DWORD dst_unused:UNUSED_PAD src0_sel:DWORD src1_sel:BYTE_0
	v_lshlrev_b32_sdwa v9, v24, v9 dst_sel:DWORD dst_unused:UNUSED_PAD src0_sel:DWORD src1_sel:BYTE_1
	v_lshlrev_b32_sdwa v42, v24, v42 dst_sel:DWORD dst_unused:UNUSED_PAD src0_sel:DWORD src1_sel:BYTE_1
	s_clause 0x5
	global_load_dword v54, v54, s[8:9]
	global_load_dword v43, v43, s[8:9] offset:1024
	global_load_dword v55, v55, s[8:9]
	global_load_dword v9, v9, s[8:9] offset:1024
	;; [unrolled: 2-line block ×3, first 2 shown]
	s_waitcnt lgkmcnt(5)
	v_lshrrev_b32_e32 v45, 16, v11
	s_waitcnt lgkmcnt(4)
	v_lshrrev_b32_e32 v46, 16, v41
	;; [unrolled: 2-line block ×4, first 2 shown]
	v_lshrrev_b32_e32 v49, 16, v18
	v_lshrrev_b32_e32 v50, 16, v21
	s_waitcnt lgkmcnt(1)
	v_lshrrev_b32_e32 v51, 16, v15
	s_waitcnt lgkmcnt(0)
	v_lshrrev_b32_e32 v52, 16, v16
	v_lshrrev_b32_e32 v53, 16, v14
	;; [unrolled: 1-line block ×3, first 2 shown]
	s_waitcnt vmcnt(24)
	v_mul_f16_sdwa v56, v47, v1 dst_sel:DWORD dst_unused:UNUSED_PAD src0_sel:DWORD src1_sel:WORD_1
	s_waitcnt vmcnt(23)
	v_mul_f16_sdwa v72, v5, v45 dst_sel:DWORD dst_unused:UNUSED_PAD src0_sel:WORD_1 src1_sel:DWORD
	s_waitcnt vmcnt(22)
	v_mul_f16_sdwa v73, v46, v13 dst_sel:DWORD dst_unused:UNUSED_PAD src0_sel:DWORD src1_sel:WORD_1
	v_mul_f16_sdwa v57, v48, v2 dst_sel:DWORD dst_unused:UNUSED_PAD src0_sel:DWORD src1_sel:WORD_1
	v_mul_f16_sdwa v58, v1, v19 dst_sel:DWORD dst_unused:UNUSED_PAD src0_sel:WORD_1 src1_sel:DWORD
	v_mul_f16_sdwa v59, v50, v3 dst_sel:DWORD dst_unused:UNUSED_PAD src0_sel:DWORD src1_sel:WORD_1
	v_mul_f16_sdwa v60, v20, v2 dst_sel:DWORD dst_unused:UNUSED_PAD src0_sel:DWORD src1_sel:WORD_1
	v_mul_f16_sdwa v61, v8, v49 dst_sel:DWORD dst_unused:UNUSED_PAD src0_sel:WORD_1 src1_sel:DWORD
	v_mul_f16_sdwa v62, v8, v18 dst_sel:DWORD dst_unused:UNUSED_PAD src0_sel:WORD_1 src1_sel:DWORD
	;; [unrolled: 1-line block ×3, first 2 shown]
	v_mul_f16_sdwa v65, v16, v4 dst_sel:DWORD dst_unused:UNUSED_PAD src0_sel:DWORD src1_sel:WORD_1
	v_mul_f16_sdwa v66, v52, v4 dst_sel:DWORD dst_unused:UNUSED_PAD src0_sel:DWORD src1_sel:WORD_1
	v_mul_f16_sdwa v67, v7, v15 dst_sel:DWORD dst_unused:UNUSED_PAD src0_sel:WORD_1 src1_sel:DWORD
	v_mul_f16_sdwa v68, v6, v53 dst_sel:DWORD dst_unused:UNUSED_PAD src0_sel:WORD_1 src1_sel:DWORD
	v_mul_f16_sdwa v69, v24, v12 dst_sel:DWORD dst_unused:UNUSED_PAD src0_sel:DWORD src1_sel:WORD_1
	v_mul_f16_sdwa v71, v17, v12 dst_sel:DWORD dst_unused:UNUSED_PAD src0_sel:DWORD src1_sel:WORD_1
	v_mul_f16_sdwa v74, v5, v11 dst_sel:DWORD dst_unused:UNUSED_PAD src0_sel:WORD_1 src1_sel:DWORD
	v_mul_f16_sdwa v75, v41, v13 dst_sel:DWORD dst_unused:UNUSED_PAD src0_sel:DWORD src1_sel:WORD_1
	v_fmac_f16_e32 v72, v5, v11
	v_fmac_f16_e32 v73, v41, v13
	v_mul_f16_sdwa v63, v21, v3 dst_sel:DWORD dst_unused:UNUSED_PAD src0_sel:DWORD src1_sel:WORD_1
	v_mul_f16_sdwa v70, v6, v14 dst_sel:DWORD dst_unused:UNUSED_PAD src0_sel:WORD_1 src1_sel:DWORD
	v_fmac_f16_e32 v57, v20, v2
	v_fmac_f16_e32 v59, v21, v3
	v_fma_f16 v20, v47, v1, -v58
	v_fma_f16 v2, v48, v2, -v60
	;; [unrolled: 1-line block ×3, first 2 shown]
	v_fmac_f16_e32 v56, v1, v19
	v_fmac_f16_e32 v66, v16, v4
	;; [unrolled: 1-line block ×3, first 2 shown]
	v_fma_f16 v1, v8, v49, -v62
	v_fmac_f16_e32 v64, v7, v15
	v_fma_f16 v4, v7, v51, -v67
	v_fmac_f16_e32 v68, v6, v14
	v_fmac_f16_e32 v69, v17, v12
	v_fma_f16 v7, v24, v12, -v71
	v_fma_f16 v5, v5, v45, -v74
	;; [unrolled: 1-line block ×3, first 2 shown]
	s_waitcnt vmcnt(21)
	v_lshrrev_b32_e32 v11, 16, v37
	s_waitcnt vmcnt(20)
	v_mul_f16_sdwa v12, v37, v40 dst_sel:DWORD dst_unused:UNUSED_PAD src0_sel:DWORD src1_sel:WORD_1
	s_waitcnt vmcnt(19)
	v_lshrrev_b32_e32 v13, 16, v33
	s_waitcnt vmcnt(18)
	v_mul_f16_sdwa v14, v33, v38 dst_sel:DWORD dst_unused:UNUSED_PAD src0_sel:DWORD src1_sel:WORD_1
	;; [unrolled: 4-line block ×8, first 2 shown]
	v_sub_f16_e32 v52, v72, v73
	v_fma_f16 v3, v50, v3, -v63
	v_fma_f16 v6, v6, v53, -v70
	v_sub_f16_e32 v50, v68, v69
	v_add_f16_e32 v53, v5, v8
	v_sub_f16_e32 v63, v5, v8
	v_mul_f16_sdwa v82, v11, v40 dst_sel:DWORD dst_unused:UNUSED_PAD src0_sel:DWORD src1_sel:WORD_1
	v_fmac_f16_e32 v12, v11, v40
	v_mul_f16_sdwa v11, v13, v38 dst_sel:DWORD dst_unused:UNUSED_PAD src0_sel:DWORD src1_sel:WORD_1
	v_fmac_f16_e32 v14, v13, v38
	;; [unrolled: 2-line block ×4, first 2 shown]
	v_fmac_f16_e32 v24, v19, v28
	v_mul_f16_sdwa v17, v19, v28 dst_sel:DWORD dst_unused:UNUSED_PAD src0_sel:DWORD src1_sel:WORD_1
	v_fmac_f16_e32 v45, v41, v31
	v_mul_f16_sdwa v19, v41, v31 dst_sel:DWORD dst_unused:UNUSED_PAD src0_sel:DWORD src1_sel:WORD_1
	;; [unrolled: 2-line block ×4, first 2 shown]
	v_mul_f16_e32 v48, 0xb853, v52
	v_add_f16_e32 v51, v6, v7
	v_sub_f16_e32 v60, v6, v7
	v_add_f16_e32 v62, v72, v73
	v_mul_f16_e32 v83, 0xbb47, v50
	v_mul_f16_e32 v84, 0xb853, v63
	;; [unrolled: 1-line block ×5, first 2 shown]
	v_fma_f16 v17, v27, v28, -v17
	v_fmamk_f16 v28, v53, 0x3abb, v48
	v_add_f16_e32 v58, v68, v69
	v_mul_f16_e32 v85, 0xbb47, v60
	v_mul_f16_e32 v93, 0xba0c, v50
	;; [unrolled: 1-line block ×5, first 2 shown]
	v_fma_f16 v37, v37, v40, -v82
	v_mul_f16_e32 v82, 0xba0c, v52
	v_fma_f16 v15, v25, v26, -v15
	v_fma_f16 v19, v29, v31, -v19
	;; [unrolled: 1-line block ×5, first 2 shown]
	v_fmamk_f16 v31, v51, 0x36a6, v83
	v_fmamk_f16 v32, v53, 0x36a6, v92
	v_fma_f16 v36, v62, 0x36a6, -v94
	v_fmamk_f16 v41, v53, 0xb08e, v102
	v_add_f16_sdwa v28, v28, v10 dst_sel:DWORD dst_unused:UNUSED_PAD src0_sel:DWORD src1_sel:WORD_1
	v_sub_f16_e32 v70, v4, v21
	v_mul_f16_e32 v105, 0x3482, v60
	v_fma_f16 v11, v33, v38, -v11
	v_mul_f16_e32 v33, 0x3beb, v50
	v_mul_f16_e32 v38, 0xba0c, v63
	v_fma_f16 v13, v30, v34, -v13
	v_mul_f16_e32 v34, 0xb482, v52
	v_mul_f16_e32 v52, 0xb482, v63
	v_fma_f16 v29, v58, 0x36a6, -v85
	v_fmamk_f16 v35, v51, 0xb93d, v93
	v_fma_f16 v39, v58, 0xb93d, -v95
	v_add_f16_e32 v27, v27, v10
	v_fmamk_f16 v46, v51, 0xbbad, v103
	v_fma_f16 v63, v62, 0xb08e, -v104
	v_add_f16_sdwa v32, v32, v10 dst_sel:DWORD dst_unused:UNUSED_PAD src0_sel:DWORD src1_sel:WORD_1
	v_add_f16_e32 v28, v31, v28
	v_fmamk_f16 v31, v53, 0xb93d, v82
	v_add_f16_e32 v36, v36, v10
	v_add_f16_sdwa v41, v41, v10 dst_sel:DWORD dst_unused:UNUSED_PAD src0_sel:DWORD src1_sel:WORD_1
	v_fma_f16 v82, v53, 0xb93d, -v82
	v_sub_f16_e32 v65, v64, v66
	v_add_f16_e32 v71, v64, v66
	v_mul_f16_e32 v87, 0xbbeb, v70
	v_mul_f16_e32 v30, 0x3beb, v60
	;; [unrolled: 1-line block ×3, first 2 shown]
	v_add_f16_e32 v27, v29, v27
	v_fma_f16 v29, v58, 0xbbad, -v105
	v_add_f16_e32 v32, v35, v32
	v_fmamk_f16 v35, v51, 0xb08e, v33
	v_add_f16_e32 v63, v63, v10
	v_add_f16_e32 v36, v39, v36
	v_fma_f16 v39, v62, 0xb93d, -v38
	v_add_f16_sdwa v31, v31, v10 dst_sel:DWORD dst_unused:UNUSED_PAD src0_sel:DWORD src1_sel:WORD_1
	v_add_f16_e32 v41, v46, v41
	v_fmamk_f16 v46, v53, 0xbbad, v34
	v_fma_f16 v34, v53, 0xbbad, -v34
	v_fma_f16 v33, v51, 0xb08e, -v33
	;; [unrolled: 1-line block ×3, first 2 shown]
	v_add_f16_sdwa v82, v82, v10 dst_sel:DWORD dst_unused:UNUSED_PAD src0_sel:DWORD src1_sel:WORD_1
	v_add_f16_e32 v67, v4, v21
	v_mul_f16_e32 v96, 0x3482, v65
	v_mul_f16_e32 v97, 0x3482, v70
	v_add_f16_e32 v29, v29, v63
	v_fma_f16 v63, v58, 0xb08e, -v30
	v_add_f16_e32 v39, v39, v10
	v_add_f16_e32 v31, v35, v31
	v_fmamk_f16 v35, v51, 0x3abb, v50
	v_fma_f16 v50, v51, 0x3abb, -v50
	v_add_f16_sdwa v34, v34, v10 dst_sel:DWORD dst_unused:UNUSED_PAD src0_sel:DWORD src1_sel:WORD_1
	v_fmac_f16_e32 v38, 0xb93d, v62
	v_fma_f16 v103, v51, 0xbbad, -v103
	v_add_f16_sdwa v102, v102, v10 dst_sel:DWORD dst_unused:UNUSED_PAD src0_sel:DWORD src1_sel:WORD_1
	v_add_f16_e32 v33, v33, v82
	v_fma_f16 v82, v71, 0xb08e, -v87
	v_sub_f16_e32 v74, v61, v59
	v_mul_f16_e32 v86, 0xbbeb, v65
	v_mul_f16_e32 v40, 0x3b47, v70
	v_add_f16_sdwa v46, v46, v10 dst_sel:DWORD dst_unused:UNUSED_PAD src0_sel:DWORD src1_sel:WORD_1
	v_mul_f16_e32 v60, 0x3853, v60
	v_add_f16_e32 v39, v63, v39
	v_fma_f16 v63, v62, 0xbbad, -v52
	v_fmac_f16_e32 v52, 0xbbad, v62
	v_add_f16_e32 v34, v50, v34
	v_mul_f16_e32 v50, 0xb853, v65
	v_fmac_f16_e32 v30, 0xb08e, v58
	v_add_f16_e32 v38, v38, v10
	v_add_f16_e32 v102, v103, v102
	v_fmamk_f16 v103, v67, 0xbbad, v96
	v_add_f16_e32 v27, v82, v27
	v_fma_f16 v82, v71, 0xbbad, -v97
	v_add_f16_e32 v75, v1, v3
	v_mul_f16_e32 v88, 0xba0c, v74
	v_mul_f16_e32 v106, 0x3b47, v65
	v_add_f16_e32 v35, v35, v46
	v_fma_f16 v46, v58, 0x3abb, -v60
	v_add_f16_e32 v63, v63, v10
	v_fmac_f16_e32 v60, 0x3abb, v58
	v_add_f16_e32 v52, v52, v10
	v_mul_f16_e32 v65, 0xba0c, v65
	v_add_f16_e32 v30, v30, v38
	v_fmamk_f16 v38, v67, 0xb08e, v86
	v_add_f16_e32 v32, v103, v32
	v_fma_f16 v103, v71, 0x36a6, -v40
	v_add_f16_e32 v36, v82, v36
	v_fmamk_f16 v82, v67, 0x3abb, v50
	v_fma_f16 v50, v67, 0x3abb, -v50
	v_sub_f16_e32 v76, v1, v3
	v_add_f16_e32 v46, v46, v63
	v_mul_f16_e32 v63, 0xb853, v74
	v_add_f16_e32 v52, v60, v52
	v_mul_f16_e32 v60, 0xb853, v70
	v_mul_f16_e32 v70, 0xba0c, v70
	v_add_f16_e32 v28, v38, v28
	v_fmamk_f16 v38, v67, 0x36a6, v106
	v_add_f16_e32 v29, v103, v29
	v_fmamk_f16 v103, v67, 0xb93d, v65
	v_fma_f16 v65, v67, 0xb93d, -v65
	v_add_f16_e32 v33, v50, v33
	v_fmamk_f16 v50, v75, 0xb93d, v88
	v_add_f16_e32 v77, v61, v59
	v_mul_f16_e32 v89, 0xba0c, v76
	v_mul_f16_e32 v98, 0x3beb, v74
	v_add_f16_e32 v38, v38, v41
	v_fma_f16 v41, v71, 0x3abb, -v60
	v_add_f16_e32 v31, v82, v31
	v_fma_f16 v82, v71, 0xb93d, -v70
	v_add_f16_e32 v34, v65, v34
	v_mul_f16_e32 v65, 0xb482, v76
	v_fmac_f16_e32 v70, 0xb93d, v71
	v_fmac_f16_e32 v60, 0x3abb, v71
	v_add_f16_e32 v28, v50, v28
	v_fmamk_f16 v50, v75, 0x3abb, v63
	v_sub_f16_e32 v78, v20, v2
	v_mul_f16_e32 v99, 0x3beb, v76
	v_add_f16_e32 v39, v41, v39
	v_mul_f16_e32 v41, 0xb853, v76
	v_mul_f16_e32 v76, 0x3b47, v76
	v_add_f16_e32 v52, v70, v52
	v_fma_f16 v70, v77, 0xb93d, -v89
	v_add_f16_e32 v30, v60, v30
	v_fmamk_f16 v60, v75, 0xb08e, v98
	v_add_f16_e32 v38, v50, v38
	v_fma_f16 v50, v77, 0xbbad, -v65
	v_add_f16_e32 v79, v56, v57
	v_sub_f16_e32 v80, v56, v57
	v_mul_f16_e32 v90, 0xb482, v78
	v_add_f16_e32 v46, v82, v46
	v_mul_f16_e32 v82, 0xb482, v74
	v_mul_f16_e32 v74, 0x3b47, v74
	v_add_f16_e32 v27, v70, v27
	v_fma_f16 v70, v77, 0xb08e, -v99
	v_add_f16_e32 v32, v60, v32
	v_fma_f16 v60, v77, 0x3abb, -v41
	v_add_f16_e32 v39, v50, v39
	v_fma_f16 v50, v77, 0x36a6, -v76
	v_add_f16_e32 v81, v20, v2
	v_mul_f16_e32 v91, 0xb482, v80
	v_mul_f16_e32 v100, 0x3853, v78
	;; [unrolled: 1-line block ×3, first 2 shown]
	v_add_f16_e32 v36, v70, v36
	v_fmamk_f16 v70, v75, 0xbbad, v82
	v_add_f16_e32 v29, v60, v29
	v_fmamk_f16 v60, v75, 0x36a6, v74
	v_fma_f16 v74, v75, 0x36a6, -v74
	v_fmac_f16_e32 v76, 0x36a6, v77
	v_add_f16_e32 v46, v50, v46
	v_fma_f16 v50, v79, 0xbbad, -v90
	v_add_f16_e32 v35, v103, v35
	v_mul_f16_e32 v103, 0xba0c, v78
	v_add_f16_e32 v31, v70, v31
	v_mul_f16_e32 v70, 0xba0c, v80
	v_add_f16_e32 v34, v74, v34
	v_fmamk_f16 v74, v81, 0xbbad, v91
	v_add_f16_e32 v52, v76, v52
	v_fma_f16 v76, v79, 0x3abb, -v100
	v_add_f16_e32 v27, v50, v27
	v_fmamk_f16 v50, v81, 0x3abb, v101
	v_add_f16_e32 v35, v60, v35
	v_mul_f16_e32 v60, 0x3b47, v78
	v_add_f16_e32 v28, v74, v28
	v_fma_f16 v74, v79, 0xb93d, -v103
	v_add_f16_e32 v36, v76, v36
	v_fmamk_f16 v76, v81, 0xb93d, v70
	v_add_f16_e32 v32, v50, v32
	v_mul_f16_e32 v50, 0x3b47, v80
	v_mul_f16_e32 v78, 0xbbeb, v78
	v_add_f16_e32 v29, v74, v29
	v_fma_f16 v74, v79, 0x36a6, -v60
	v_add_f16_e32 v38, v76, v38
	v_fmamk_f16 v76, v81, 0x36a6, v50
	v_mul_f16_e32 v80, 0xbbeb, v80
	v_fmac_f16_e32 v65, 0xbbad, v77
	v_add_f16_e32 v39, v74, v39
	v_fma_f16 v74, v79, 0xb08e, -v78
	v_add_f16_e32 v31, v76, v31
	v_fmamk_f16 v76, v81, 0xb08e, v80
	v_fmac_f16_e32 v78, 0xb08e, v79
	v_fma_f16 v80, v81, 0xb08e, -v80
	v_add_f16_e32 v46, v74, v46
	v_mul_f16_e32 v74, v27, v12
	v_add_f16_e32 v35, v76, v35
	v_add_f16_e32 v52, v78, v52
	;; [unrolled: 1-line block ×3, first 2 shown]
	v_mul_f16_e32 v76, v28, v12
	v_mul_f16_e32 v12, v36, v14
	;; [unrolled: 1-line block ×7, first 2 shown]
	v_fma_f16 v82, v75, 0xbbad, -v82
	v_fma_f16 v28, v28, v37, -v74
	v_mul_f16_e32 v74, v46, v24
	v_mul_f16_e32 v24, v35, v24
	v_fmac_f16_e32 v78, v36, v11
	v_fma_f16 v36, v38, v13, -v14
	v_fmac_f16_e32 v16, v29, v13
	v_fma_f16 v29, v31, v15, -v80
	;; [unrolled: 2-line block ×3, first 2 shown]
	v_add_f16_e32 v15, v65, v30
	v_fmac_f16_e32 v60, 0x36a6, v79
	v_fmac_f16_e32 v104, 0xb08e, v62
	;; [unrolled: 1-line block ×3, first 2 shown]
	v_mul_f16_e32 v27, v52, v45
	v_mul_f16_e32 v37, v34, v45
	v_fma_f16 v32, v32, v11, -v12
	v_fma_f16 v12, v35, v17, -v74
	v_fmac_f16_e32 v24, v46, v17
	v_add_f16_e32 v13, v82, v33
	v_fma_f16 v17, v81, 0x36a6, -v50
	v_add_f16_e32 v14, v14, v102
	v_fma_f16 v30, v75, 0x3abb, -v63
	v_add_f16_e32 v15, v60, v15
	v_fmac_f16_e32 v105, 0xbbad, v58
	v_add_f16_e32 v104, v104, v10
	v_fma_f16 v27, v34, v19, -v27
	v_add_f16_e32 v13, v17, v13
	v_add_f16_e32 v14, v30, v14
	v_mul_f16_e32 v30, v15, v47
	v_fmac_f16_e32 v37, v52, v19
	v_fma_f16 v19, v53, 0x36a6, -v92
	v_add_f16_e32 v11, v105, v104
	v_fmac_f16_e32 v40, 0x36a6, v71
	v_mul_f16_e32 v31, v13, v47
	v_fma_f16 v13, v13, v25, -v30
	s_waitcnt vmcnt(5)
	v_lshrrev_b32_e32 v30, 16, v54
	v_fma_f16 v33, v51, 0xb93d, -v93
	v_add_f16_sdwa v19, v19, v10 dst_sel:DWORD dst_unused:UNUSED_PAD src0_sel:DWORD src1_sel:WORD_1
	s_waitcnt vmcnt(4)
	v_mul_f16_sdwa v34, v54, v43 dst_sel:DWORD dst_unused:UNUSED_PAD src0_sel:DWORD src1_sel:WORD_1
	v_add_f16_e32 v11, v40, v11
	v_fmac_f16_e32 v41, 0x3abb, v77
	v_mul_f16_sdwa v35, v30, v43 dst_sel:DWORD dst_unused:UNUSED_PAD src0_sel:DWORD src1_sel:WORD_1
	v_add_f16_e32 v19, v33, v19
	v_fma_f16 v33, v67, 0xbbad, -v96
	v_fmac_f16_e32 v34, v30, v43
	v_fma_f16 v30, v53, 0x3abb, -v48
	v_add_f16_e32 v11, v41, v11
	v_fmac_f16_e32 v103, 0xb93d, v79
	v_fma_f16 v17, v81, 0xb93d, -v70
	v_add_f16_e32 v19, v33, v19
	v_fma_f16 v33, v75, 0xb08e, -v98
	v_fma_f16 v38, v51, 0x36a6, -v83
	v_add_f16_sdwa v30, v30, v10 dst_sel:DWORD dst_unused:UNUSED_PAD src0_sel:DWORD src1_sel:WORD_1
	v_add_f16_e32 v11, v103, v11
	v_add_f16_e32 v14, v17, v14
	;; [unrolled: 1-line block ×3, first 2 shown]
	v_fma_f16 v33, v67, 0xb08e, -v86
	v_add_f16_e32 v30, v38, v30
	v_fmac_f16_e32 v31, v15, v25
	v_mul_f16_e32 v15, v11, v49
	v_mul_f16_e32 v17, v14, v49
	v_fma_f16 v39, v75, 0xb93d, -v88
	v_add_f16_e32 v30, v33, v30
	v_fmac_f16_e32 v94, 0x36a6, v62
	v_fma_f16 v14, v14, v26, -v15
	v_fmac_f16_e32 v17, v11, v26
	v_fma_f16 v11, v81, 0xbbad, -v91
	v_add_f16_e32 v15, v39, v30
	v_add_f16_e32 v30, v72, v10
	v_fmac_f16_e32 v84, 0x3abb, v62
	v_add_f16_e32 v25, v94, v10
	v_add_f16_sdwa v5, v5, v10 dst_sel:DWORD dst_unused:UNUSED_PAD src0_sel:DWORD src1_sel:WORD_1
	v_add_f16_e32 v11, v11, v15
	v_fmac_f16_e32 v85, 0x36a6, v58
	v_add_f16_e32 v15, v30, v68
	v_add_f16_e32 v10, v84, v10
	v_add_f16_e32 v5, v5, v6
	v_fmac_f16_e32 v87, 0xb08e, v71
	v_fmac_f16_e32 v89, 0xb93d, v77
	v_add_f16_e32 v6, v15, v64
	v_add_f16_e32 v10, v85, v10
	;; [unrolled: 1-line block ×3, first 2 shown]
	s_waitcnt vmcnt(3)
	v_lshrrev_b32_e32 v30, 16, v55
	v_fmac_f16_e32 v90, 0xbbad, v79
	v_add_f16_e32 v5, v6, v61
	v_add_f16_e32 v6, v87, v10
	v_mov_b32_e32 v10, 0x21e
	v_add_f16_e32 v1, v4, v1
	s_waitcnt vmcnt(2)
	v_mul_f16_sdwa v15, v30, v9 dst_sel:DWORD dst_unused:UNUSED_PAD src0_sel:DWORD src1_sel:WORD_1
	v_add_f16_e32 v4, v5, v56
	v_add_f16_e32 v5, v89, v6
	v_mul_u32_u24_sdwa v6, v0, v10 dst_sel:DWORD dst_unused:UNUSED_PAD src0_sel:WORD_0 src1_sel:DWORD
	v_add_f16_e32 v1, v1, v20
	v_mul_f16_sdwa v10, v55, v9 dst_sel:DWORD dst_unused:UNUSED_PAD src0_sel:DWORD src1_sel:WORD_1
	v_add_f16_e32 v4, v4, v57
	v_add_f16_e32 v5, v90, v5
	v_lshrrev_b32_e32 v6, 16, v6
	v_add_f16_e32 v1, v1, v2
	v_fmac_f16_e32 v10, v30, v9
	v_add_f16_e32 v2, v4, v59
	v_fma_f16 v4, v55, v9, -v15
	v_mul_lo_u16 v6, 0x79, v6
	v_add_f16_e32 v1, v1, v3
	v_mul_f16_e32 v9, v5, v10
	v_add_f16_e32 v2, v2, v66
	v_mul_f16_e32 v15, v11, v10
	v_sub_nc_u16 v3, v0, v6
	v_add_f16_e32 v1, v1, v21
	s_waitcnt vmcnt(1)
	v_lshrrev_b32_e32 v6, 16, v44
	v_add_f16_e32 v2, v2, v69
	s_waitcnt vmcnt(0)
	v_mul_f16_sdwa v10, v44, v42 dst_sel:DWORD dst_unused:UNUSED_PAD src0_sel:DWORD src1_sel:WORD_1
	v_sub_nc_u32_sdwa v0, v0, v3 dst_sel:DWORD dst_unused:UNUSED_PAD src0_sel:DWORD src1_sel:WORD_0
	v_add_f16_e32 v3, v1, v7
	v_mul_f16_sdwa v7, v6, v42 dst_sel:DWORD dst_unused:UNUSED_PAD src0_sel:DWORD src1_sel:WORD_1
	v_add_f16_e32 v20, v2, v73
	v_fmac_f16_e32 v10, v6, v42
	v_add_nc_u32_e32 v21, v0, v23
	v_mad_u64_u32 v[0:1], null, s2, v22, 0
	v_add_f16_e32 v6, v3, v8
	v_fmac_f16_e32 v95, 0xb93d, v58
	v_mad_u64_u32 v[2:3], null, s0, v21, 0
	v_fmac_f16_e32 v97, 0xbbad, v71
	v_fma_f16 v11, v11, v4, -v9
	v_add_f16_e32 v25, v95, v25
	v_fmac_f16_e32 v15, v5, v4
	v_fma_f16 v8, v44, v42, -v7
	v_mul_f16_e32 v7, v20, v10
	v_mad_u64_u32 v[4:5], null, s3, v22, v[1:2]
	v_add_nc_u32_e32 v9, 11, v21
	v_add_f16_e32 v25, v97, v25
	v_fmac_f16_e32 v99, 0xb08e, v77
	v_fma_f16 v23, v6, v8, -v7
	v_mul_f16_e32 v22, v6, v10
	v_fmac_f16_e32 v100, 0x3abb, v79
	v_mad_u64_u32 v[5:6], null, s1, v21, v[3:4]
	v_mad_u64_u32 v[6:7], null, s0, v9, 0
	v_add_f16_e32 v25, v99, v25
	v_fma_f16 v38, v81, 0x3abb, -v101
	v_mov_b32_e32 v1, v4
	v_fma_f16 v35, v54, v43, -v35
	v_add_nc_u32_e32 v10, 22, v21
	v_add_f16_e32 v25, v100, v25
	v_mov_b32_e32 v4, v7
	v_add_f16_e32 v19, v38, v19
	v_mov_b32_e32 v3, v5
	v_lshlrev_b64 v[0:1], 2, v[0:1]
	v_mul_f16_e32 v33, v25, v34
	v_mad_u64_u32 v[4:5], null, s1, v9, v[4:5]
	s_lshl_b64 s[2:3], s[6:7], 2
	v_fmac_f16_e32 v22, v20, v8
	v_fma_f16 v26, v19, v35, -v33
	v_mul_f16_e32 v19, v19, v34
	v_mad_u64_u32 v[8:9], null, s0, v10, 0
	v_add_nc_u32_e32 v30, 33, v21
	s_add_u32 s2, s4, s2
	s_addc_u32 s3, s5, s3
	v_add_co_u32 v20, vcc_lo, s2, v0
	v_fmac_f16_e32 v19, v25, v35
	v_add_co_ci_u32_e32 v25, vcc_lo, s3, v1, vcc_lo
	v_lshlrev_b64 v[0:1], 2, v[2:3]
	v_mov_b32_e32 v7, v4
	v_mad_u64_u32 v[3:4], null, s0, v30, 0
	v_mov_b32_e32 v2, v9
	v_pack_b32_f16 v11, v15, v11
	v_lshlrev_b64 v[5:6], 2, v[6:7]
	v_add_co_u32 v0, vcc_lo, v20, v0
	v_add_co_ci_u32_e32 v1, vcc_lo, v25, v1, vcc_lo
	v_mad_u64_u32 v[9:10], null, s1, v10, v[2:3]
	v_pack_b32_f16 v10, v22, v23
	v_mov_b32_e32 v2, v4
	v_add_co_u32 v4, vcc_lo, v20, v5
	v_add_co_ci_u32_e32 v5, vcc_lo, v25, v6, vcc_lo
	v_mad_u64_u32 v[6:7], null, s1, v30, v[2:3]
	global_store_dword v[0:1], v10, off
	v_add_nc_u32_e32 v10, 44, v21
	global_store_dword v[4:5], v11, off
	v_lshlrev_b64 v[0:1], 2, v[8:9]
	v_add_nc_u32_e32 v11, 55, v21
	v_pack_b32_f16 v15, v19, v26
	v_mad_u64_u32 v[7:8], null, s0, v10, 0
	v_mov_b32_e32 v4, v6
	v_mad_u64_u32 v[5:6], null, s0, v11, 0
	v_add_co_u32 v0, vcc_lo, v20, v0
	v_lshlrev_b64 v[2:3], 2, v[3:4]
	v_mov_b32_e32 v4, v8
	v_add_co_ci_u32_e32 v1, vcc_lo, v25, v1, vcc_lo
	v_add_nc_u32_e32 v19, 0x6e, v21
	v_mad_u64_u32 v[8:9], null, s1, v10, v[4:5]
	v_mov_b32_e32 v4, v6
	v_add_co_u32 v2, vcc_lo, v20, v2
	v_pack_b32_f16 v6, v17, v14
	v_add_nc_u32_e32 v14, 0x42, v21
	v_mad_u64_u32 v[9:10], null, s1, v11, v[4:5]
	v_add_co_ci_u32_e32 v3, vcc_lo, v25, v3, vcc_lo
	v_mad_u64_u32 v[10:11], null, s0, v14, 0
	global_store_dword v[0:1], v15, off
	global_store_dword v[2:3], v6, off
	v_mov_b32_e32 v6, v9
	v_lshlrev_b64 v[0:1], 2, v[7:8]
	v_pack_b32_f16 v8, v31, v13
	v_add_nc_u32_e32 v13, 0x4d, v21
	v_mov_b32_e32 v2, v11
	v_lshlrev_b64 v[3:4], 2, v[5:6]
	v_add_nc_u32_e32 v15, 0x63, v21
	v_add_co_u32 v0, vcc_lo, v20, v0
	v_add_co_ci_u32_e32 v1, vcc_lo, v25, v1, vcc_lo
	v_mad_u64_u32 v[5:6], null, s1, v14, v[2:3]
	v_add_co_u32 v2, vcc_lo, v20, v3
	v_mad_u64_u32 v[6:7], null, s0, v13, 0
	v_add_co_ci_u32_e32 v3, vcc_lo, v25, v4, vcc_lo
	v_mov_b32_e32 v11, v5
	v_add_nc_u32_e32 v5, 0x58, v21
	v_pack_b32_f16 v4, v37, v27
	global_store_dword v[0:1], v8, off
	global_store_dword v[2:3], v4, off
	v_mad_u64_u32 v[3:4], null, s0, v5, 0
	v_mov_b32_e32 v2, v7
	v_lshlrev_b64 v[0:1], 2, v[10:11]
	v_mad_u64_u32 v[8:9], null, s0, v15, 0
	v_pack_b32_f16 v17, v24, v12
	v_mad_u64_u32 v[10:11], null, s1, v13, v[2:3]
	v_add_co_u32 v0, vcc_lo, v20, v0
	v_mad_u64_u32 v[11:12], null, s0, v19, 0
	v_add_co_ci_u32_e32 v1, vcc_lo, v25, v1, vcc_lo
	v_mov_b32_e32 v2, v4
	v_mov_b32_e32 v7, v10
	;; [unrolled: 1-line block ×3, first 2 shown]
	global_store_dword v[0:1], v17, off
	v_mov_b32_e32 v0, v12
	v_mad_u64_u32 v[13:14], null, s1, v5, v[2:3]
	v_lshlrev_b64 v[1:2], 2, v[6:7]
	v_mad_u64_u32 v[14:15], null, s1, v15, v[4:5]
	v_pack_b32_f16 v10, v18, v29
	v_mad_u64_u32 v[5:6], null, s1, v19, v[0:1]
	v_mov_b32_e32 v4, v13
	v_mov_b32_e32 v9, v14
	v_add_co_u32 v0, vcc_lo, v20, v1
	v_add_co_ci_u32_e32 v1, vcc_lo, v25, v2, vcc_lo
	v_lshlrev_b64 v[2:3], 2, v[3:4]
	v_mov_b32_e32 v12, v5
	v_lshlrev_b64 v[6:7], 2, v[8:9]
	v_pack_b32_f16 v8, v16, v36
	v_pack_b32_f16 v9, v78, v32
	v_add_co_u32 v2, vcc_lo, v20, v2
	v_lshlrev_b64 v[4:5], 2, v[11:12]
	v_add_co_ci_u32_e32 v3, vcc_lo, v25, v3, vcc_lo
	v_add_co_u32 v6, vcc_lo, v20, v6
	v_add_co_ci_u32_e32 v7, vcc_lo, v25, v7, vcc_lo
	v_add_co_u32 v4, vcc_lo, v20, v4
	v_add_co_ci_u32_e32 v5, vcc_lo, v25, v5, vcc_lo
	v_pack_b32_f16 v11, v76, v28
	global_store_dword v[0:1], v10, off
	global_store_dword v[2:3], v8, off
	;; [unrolled: 1-line block ×4, first 2 shown]
.LBB0_16:
	s_endpgm
	.section	.rodata,"a",@progbits
	.p2align	6, 0x0
	.amdhsa_kernel fft_rtc_back_len121_factors_11_11_wgs_121_tpt_11_half_ip_CI_sbcc_twdbase8_2step_dirReg
		.amdhsa_group_segment_fixed_size 0
		.amdhsa_private_segment_fixed_size 0
		.amdhsa_kernarg_size 96
		.amdhsa_user_sgpr_count 6
		.amdhsa_user_sgpr_private_segment_buffer 1
		.amdhsa_user_sgpr_dispatch_ptr 0
		.amdhsa_user_sgpr_queue_ptr 0
		.amdhsa_user_sgpr_kernarg_segment_ptr 1
		.amdhsa_user_sgpr_dispatch_id 0
		.amdhsa_user_sgpr_flat_scratch_init 0
		.amdhsa_user_sgpr_private_segment_size 0
		.amdhsa_wavefront_size32 1
		.amdhsa_uses_dynamic_stack 0
		.amdhsa_system_sgpr_private_segment_wavefront_offset 0
		.amdhsa_system_sgpr_workgroup_id_x 1
		.amdhsa_system_sgpr_workgroup_id_y 0
		.amdhsa_system_sgpr_workgroup_id_z 0
		.amdhsa_system_sgpr_workgroup_info 0
		.amdhsa_system_vgpr_workitem_id 0
		.amdhsa_next_free_vgpr 107
		.amdhsa_next_free_sgpr 46
		.amdhsa_reserve_vcc 1
		.amdhsa_reserve_flat_scratch 0
		.amdhsa_float_round_mode_32 0
		.amdhsa_float_round_mode_16_64 0
		.amdhsa_float_denorm_mode_32 3
		.amdhsa_float_denorm_mode_16_64 3
		.amdhsa_dx10_clamp 1
		.amdhsa_ieee_mode 1
		.amdhsa_fp16_overflow 0
		.amdhsa_workgroup_processor_mode 1
		.amdhsa_memory_ordered 1
		.amdhsa_forward_progress 0
		.amdhsa_shared_vgpr_count 0
		.amdhsa_exception_fp_ieee_invalid_op 0
		.amdhsa_exception_fp_denorm_src 0
		.amdhsa_exception_fp_ieee_div_zero 0
		.amdhsa_exception_fp_ieee_overflow 0
		.amdhsa_exception_fp_ieee_underflow 0
		.amdhsa_exception_fp_ieee_inexact 0
		.amdhsa_exception_int_div_zero 0
	.end_amdhsa_kernel
	.text
.Lfunc_end0:
	.size	fft_rtc_back_len121_factors_11_11_wgs_121_tpt_11_half_ip_CI_sbcc_twdbase8_2step_dirReg, .Lfunc_end0-fft_rtc_back_len121_factors_11_11_wgs_121_tpt_11_half_ip_CI_sbcc_twdbase8_2step_dirReg
                                        ; -- End function
	.section	.AMDGPU.csdata,"",@progbits
; Kernel info:
; codeLenInByte = 9036
; NumSgprs: 48
; NumVgprs: 107
; ScratchSize: 0
; MemoryBound: 0
; FloatMode: 240
; IeeeMode: 1
; LDSByteSize: 0 bytes/workgroup (compile time only)
; SGPRBlocks: 5
; VGPRBlocks: 13
; NumSGPRsForWavesPerEU: 48
; NumVGPRsForWavesPerEU: 107
; Occupancy: 9
; WaveLimiterHint : 1
; COMPUTE_PGM_RSRC2:SCRATCH_EN: 0
; COMPUTE_PGM_RSRC2:USER_SGPR: 6
; COMPUTE_PGM_RSRC2:TRAP_HANDLER: 0
; COMPUTE_PGM_RSRC2:TGID_X_EN: 1
; COMPUTE_PGM_RSRC2:TGID_Y_EN: 0
; COMPUTE_PGM_RSRC2:TGID_Z_EN: 0
; COMPUTE_PGM_RSRC2:TIDIG_COMP_CNT: 0
	.text
	.p2alignl 6, 3214868480
	.fill 48, 4, 3214868480
	.type	__hip_cuid_17936bb4e4dd17a8,@object ; @__hip_cuid_17936bb4e4dd17a8
	.section	.bss,"aw",@nobits
	.globl	__hip_cuid_17936bb4e4dd17a8
__hip_cuid_17936bb4e4dd17a8:
	.byte	0                               ; 0x0
	.size	__hip_cuid_17936bb4e4dd17a8, 1

	.ident	"AMD clang version 19.0.0git (https://github.com/RadeonOpenCompute/llvm-project roc-6.4.0 25133 c7fe45cf4b819c5991fe208aaa96edf142730f1d)"
	.section	".note.GNU-stack","",@progbits
	.addrsig
	.addrsig_sym __hip_cuid_17936bb4e4dd17a8
	.amdgpu_metadata
---
amdhsa.kernels:
  - .args:
      - .actual_access:  read_only
        .address_space:  global
        .offset:         0
        .size:           8
        .value_kind:     global_buffer
      - .address_space:  global
        .offset:         8
        .size:           8
        .value_kind:     global_buffer
      - .offset:         16
        .size:           8
        .value_kind:     by_value
      - .actual_access:  read_only
        .address_space:  global
        .offset:         24
        .size:           8
        .value_kind:     global_buffer
      - .actual_access:  read_only
        .address_space:  global
        .offset:         32
        .size:           8
        .value_kind:     global_buffer
      - .offset:         40
        .size:           8
        .value_kind:     by_value
      - .actual_access:  read_only
        .address_space:  global
        .offset:         48
        .size:           8
        .value_kind:     global_buffer
      - .actual_access:  read_only
        .address_space:  global
        .offset:         56
        .size:           8
        .value_kind:     global_buffer
      - .offset:         64
        .size:           4
        .value_kind:     by_value
      - .actual_access:  read_only
        .address_space:  global
        .offset:         72
        .size:           8
        .value_kind:     global_buffer
      - .actual_access:  read_only
        .address_space:  global
        .offset:         80
        .size:           8
        .value_kind:     global_buffer
      - .address_space:  global
        .offset:         88
        .size:           8
        .value_kind:     global_buffer
    .group_segment_fixed_size: 0
    .kernarg_segment_align: 8
    .kernarg_segment_size: 96
    .language:       OpenCL C
    .language_version:
      - 2
      - 0
    .max_flat_workgroup_size: 121
    .name:           fft_rtc_back_len121_factors_11_11_wgs_121_tpt_11_half_ip_CI_sbcc_twdbase8_2step_dirReg
    .private_segment_fixed_size: 0
    .sgpr_count:     48
    .sgpr_spill_count: 0
    .symbol:         fft_rtc_back_len121_factors_11_11_wgs_121_tpt_11_half_ip_CI_sbcc_twdbase8_2step_dirReg.kd
    .uniform_work_group_size: 1
    .uses_dynamic_stack: false
    .vgpr_count:     107
    .vgpr_spill_count: 0
    .wavefront_size: 32
    .workgroup_processor_mode: 1
amdhsa.target:   amdgcn-amd-amdhsa--gfx1030
amdhsa.version:
  - 1
  - 2
...

	.end_amdgpu_metadata
